;; amdgpu-corpus repo=ROCm/bitsandbytes kind=harvested arch=n/a opt=n/a
	.text
	.amdgcn_target "amdgcn-amd-amdhsa--gfx90a"
	.amdhsa_code_object_version 6
	.protected	_Z21kOptimizer32bit1StateI12hip_bfloat16Li2EEvPT_S2_PfS3_ffffffiffbi ; -- Begin function _Z21kOptimizer32bit1StateI12hip_bfloat16Li2EEvPT_S2_PfS3_ffffffiffbi
	.globl	_Z21kOptimizer32bit1StateI12hip_bfloat16Li2EEvPT_S2_PfS3_ffffffiffbi
	.p2align	8
	.type	_Z21kOptimizer32bit1StateI12hip_bfloat16Li2EEvPT_S2_PfS3_ffffffiffbi,@function
_Z21kOptimizer32bit1StateI12hip_bfloat16Li2EEvPT_S2_PfS3_ffffffiffbi: ; @_Z21kOptimizer32bit1StateI12hip_bfloat16Li2EEvPT_S2_PfS3_ffffffiffbi
; %bb.0:
	s_load_dwordx4 s[16:19], s[4:5], 0x20
	s_load_dwordx8 s[8:15], s[4:5], 0x0
	s_load_dwordx2 s[24:25], s[4:5], 0x30
	s_load_dword s2, s[4:5], 0x5c
	v_mov_b32_e32 v12, 1.0
	s_waitcnt lgkmcnt(0)
	v_cmp_ngt_f32_e64 s[0:1], s16, 0
	s_and_b64 vcc, exec, s[0:1]
	s_cbranch_vccnz .LBB55_3
; %bb.1:
	s_load_dword s0, s[14:15], 0x0
	v_mov_b32_e32 v1, 0xf800000
	v_mov_b32_e32 v2, 0x4f800000
	v_mov_b32_e32 v12, 1.0
	s_waitcnt lgkmcnt(0)
	v_mul_f32_e32 v2, s0, v2
	v_mov_b32_e32 v3, s0
	v_cmp_lt_f32_e32 vcc, s0, v1
	v_cndmask_b32_e32 v1, v3, v2, vcc
	v_sqrt_f32_e32 v2, v1
	v_add_u32_e32 v3, -1, v2
	v_add_u32_e32 v4, 1, v2
	v_fma_f32 v5, -v3, v2, v1
	v_fma_f32 v6, -v4, v2, v1
	v_cmp_ge_f32_e64 s[0:1], 0, v5
	v_cndmask_b32_e64 v2, v2, v3, s[0:1]
	v_cmp_lt_f32_e64 s[0:1], 0, v6
	v_cndmask_b32_e64 v2, v2, v4, s[0:1]
	v_mul_f32_e32 v3, 0x37800000, v2
	v_cndmask_b32_e32 v2, v2, v3, vcc
	v_mov_b32_e32 v3, 0x260
	v_cmp_class_f32_e32 vcc, v1, v3
	v_cndmask_b32_e32 v1, v2, v1, vcc
	v_mov_b32_e32 v2, s24
	v_mov_b32_e32 v3, s17
	v_fma_f32 v2, s16, v3, v2
	v_cmp_ngt_f32_e32 vcc, v1, v2
	s_cbranch_vccnz .LBB55_3
; %bb.2:
	v_div_scale_f32 v3, s[0:1], v1, v1, v2
	v_rcp_f32_e32 v4, v3
	v_div_scale_f32 v5, vcc, v2, v1, v2
	v_fma_f32 v6, -v3, v4, 1.0
	v_fmac_f32_e32 v4, v6, v4
	v_mul_f32_e32 v6, v5, v4
	v_fma_f32 v7, -v3, v6, v5
	v_fmac_f32_e32 v6, v7, v4
	v_fma_f32 v3, -v3, v6, v5
	v_div_fmas_f32 v3, v3, v4, v6
	v_div_fixup_f32 v12, v3, v1, v2
.LBB55_3:
	s_load_dwordx4 s[20:23], s[4:5], 0x3c
	s_waitcnt lgkmcnt(0)
	s_ashr_i32 s0, s23, 31
	s_lshr_b32 s0, s0, 20
	s_add_i32 s0, s23, s0
	s_and_b32 s1, s23, 0xfff
	s_and_b32 s3, s0, 0xfffff000
	s_cmp_lg_u32 s1, 0
	s_cselect_b64 s[0:1], -1, 0
	v_cndmask_b32_e64 v1, 0, 1, s[0:1]
	s_and_b32 s0, 0xffff, s2
	v_readfirstlane_b32 s1, v1
	s_mul_i32 s6, s6, s0
	s_lshl_b32 s19, s1, 12
	s_add_i32 s19, s19, s3
	s_lshl_b32 s14, s6, 2
	s_cmp_ge_u32 s14, s19
	s_cbranch_scc1 .LBB55_110
; %bb.4:
	v_mbcnt_lo_u32_b32 v1, -1, 0
	v_mbcnt_hi_u32_b32 v1, -1, v1
	v_lshlrev_b32_e32 v2, 2, v0
	v_lshlrev_b32_e32 v3, 1, v1
	v_and_b32_e32 v2, 0xf00, v2
	v_mov_b32_e32 v4, s9
	v_add_co_u32_e32 v5, vcc, s8, v3
	v_addc_co_u32_e32 v4, vcc, 0, v4, vcc
	v_lshlrev_b32_e32 v6, 1, v2
	v_add_co_u32_e32 v13, vcc, v5, v6
	v_or_b32_e32 v15, v1, v2
	v_addc_co_u32_e32 v14, vcc, 0, v4, vcc
	v_lshrrev_b32_e32 v4, 5, v15
	v_add_u32_e32 v16, 64, v15
	v_and_b32_e32 v5, 0x7a, v4
	v_add_lshl_u32 v19, v5, v15, 1
	v_lshrrev_b32_e32 v5, 5, v16
	v_or_b32_e32 v17, 0x80, v15
	v_and_b32_e32 v7, 0x7e, v5
	v_add_lshl_u32 v20, v7, v16, 1
	v_lshrrev_b32_e32 v7, 5, v17
	v_add_u32_e32 v18, 0xc0, v15
	v_and_b32_e32 v8, 0x7e, v7
	v_add_lshl_u32 v21, v8, v17, 1
	v_lshrrev_b32_e32 v8, 5, v18
	v_and_b32_e32 v0, 0x3c0, v0
	v_and_b32_e32 v9, 0xfe, v8
	v_add_u32_e32 v0, v1, v0
	v_add_lshl_u32 v22, v9, v18, 1
	v_lshlrev_b32_e32 v9, 2, v0
	v_bfe_u32 v0, v0, 3, 27
	v_and_b32_e32 v10, 0xfe, v0
	v_lshlrev_b32_e32 v1, 2, v1
	v_add_lshl_u32 v23, v10, v9, 1
	v_mov_b32_e32 v10, s13
	v_add_co_u32_e32 v1, vcc, s12, v1
	v_addc_co_u32_e32 v10, vcc, 0, v10, vcc
	v_lshlrev_b32_e32 v2, 2, v2
	s_load_dword s2, s[4:5], 0x50
	v_add_co_u32_e32 v24, vcc, v1, v2
	v_addc_co_u32_e32 v25, vcc, 0, v10, vcc
	v_add_lshl_u32 v30, v0, v9, 2
	v_mov_b32_e32 v0, s11
	v_add_co_u32_e32 v1, vcc, s10, v3
	s_bitcmp1_b32 s22, 0
	v_addc_co_u32_e32 v0, vcc, 0, v0, vcc
	s_cselect_b64 s[0:1], -1, 0
	v_add_co_u32_e32 v31, vcc, v1, v6
	s_mov_b32 s15, 0
	v_add_lshl_u32 v26, v4, v15, 2
	v_add_lshl_u32 v27, v5, v16, 2
	;; [unrolled: 1-line block ×4, first 2 shown]
	v_addc_co_u32_e32 v32, vcc, 0, v0, vcc
	v_cmp_gt_f32_e64 s[10:11], s25, 0
	v_sub_f32_e64 v33, 1.0, s18
	s_waitcnt lgkmcnt(0)
	s_lshl_b32 s22, s2, 12
	s_sub_i32 s23, s23, s14
	s_mov_b32 s26, 0x7f800000
	s_movk_i32 s27, 0x7fff
	s_xor_b64 s[12:13], s[0:1], -1
	s_mov_b32 s28, 0xf800000
	v_mov_b32_e32 v34, 0x260
	s_mov_b32 s29, 0x5040100
	v_mov_b32_e32 v35, 0
                                        ; implicit-def: $vgpr39
                                        ; implicit-def: $vgpr38
                                        ; implicit-def: $vgpr11
                                        ; implicit-def: $vgpr10
                                        ; implicit-def: $vgpr8
                                        ; implicit-def: $vgpr9
                                        ; implicit-def: $vgpr36
                                        ; implicit-def: $vgpr37
                                        ; implicit-def: $vgpr0_vgpr1_vgpr2_vgpr3
	s_branch .LBB55_6
.LBB55_5:                               ;   in Loop: Header=BB55_6 Depth=1
	s_or_b64 exec, exec, s[0:1]
	s_add_i32 s14, s14, s22
	s_sub_i32 s23, s23, s22
	s_cmp_ge_u32 s14, s19
	s_cbranch_scc1 .LBB55_110
.LBB55_6:                               ; =>This Inner Loop Header: Depth=1
	s_lshl_b64 s[8:9], s[14:15], 1
	s_min_u32 s16, s23, 0x1000
	v_mov_b32_e32 v5, s9
	v_add_co_u32_e32 v4, vcc, s8, v13
	v_addc_co_u32_e32 v5, vcc, v14, v5, vcc
	v_cmp_gt_u32_e64 s[0:1], s16, v15
	s_barrier
	s_and_saveexec_b64 s[2:3], s[0:1]
	s_cbranch_execnz .LBB55_44
; %bb.7:                                ;   in Loop: Header=BB55_6 Depth=1
	s_or_b64 exec, exec, s[2:3]
	v_cmp_gt_u32_e64 s[2:3], s16, v16
	s_and_saveexec_b64 s[4:5], s[2:3]
	s_cbranch_execnz .LBB55_45
.LBB55_8:                               ;   in Loop: Header=BB55_6 Depth=1
	s_or_b64 exec, exec, s[4:5]
	v_cmp_gt_u32_e64 s[4:5], s16, v17
	s_and_saveexec_b64 s[6:7], s[4:5]
	s_cbranch_execnz .LBB55_46
.LBB55_9:                               ;   in Loop: Header=BB55_6 Depth=1
	s_or_b64 exec, exec, s[6:7]
	v_cmp_gt_u32_e64 s[6:7], s16, v18
	s_and_saveexec_b64 s[16:17], s[6:7]
	s_cbranch_execz .LBB55_11
.LBB55_10:                              ;   in Loop: Header=BB55_6 Depth=1
	global_load_ushort v39, v[4:5], off offset:384
.LBB55_11:                              ;   in Loop: Header=BB55_6 Depth=1
	s_or_b64 exec, exec, s[16:17]
	s_waitcnt vmcnt(0)
	ds_write_b16 v19, v10
	ds_write_b16 v20, v11
	ds_write_b16 v21, v38
	ds_write_b16 v22, v39
	; wave barrier
	ds_read_b64 v[10:11], v23
	s_lshl_b64 s[16:17], s[14:15], 2
	v_mov_b32_e32 v5, s17
	v_add_co_u32_e32 v4, vcc, s16, v24
	v_addc_co_u32_e32 v5, vcc, v25, v5, vcc
	s_waitcnt lgkmcnt(0)
	s_barrier
	s_and_saveexec_b64 s[16:17], s[0:1]
	s_cbranch_execnz .LBB55_47
; %bb.12:                               ;   in Loop: Header=BB55_6 Depth=1
	s_or_b64 exec, exec, s[16:17]
	s_and_saveexec_b64 s[16:17], s[2:3]
	s_cbranch_execnz .LBB55_48
.LBB55_13:                              ;   in Loop: Header=BB55_6 Depth=1
	s_or_b64 exec, exec, s[16:17]
	s_and_saveexec_b64 s[16:17], s[4:5]
	s_cbranch_execnz .LBB55_49
.LBB55_14:                              ;   in Loop: Header=BB55_6 Depth=1
	s_or_b64 exec, exec, s[16:17]
	s_and_saveexec_b64 s[16:17], s[6:7]
	s_cbranch_execz .LBB55_16
.LBB55_15:                              ;   in Loop: Header=BB55_6 Depth=1
	global_load_dword v3, v[4:5], off offset:768
.LBB55_16:                              ;   in Loop: Header=BB55_6 Depth=1
	s_or_b64 exec, exec, s[16:17]
	s_waitcnt vmcnt(0)
	ds_write_b32 v26, v0
	ds_write_b32 v27, v1
	;; [unrolled: 1-line block ×4, first 2 shown]
	; wave barrier
	ds_read2_b32 v[2:3], v30 offset1:1
	ds_read2_b32 v[0:1], v30 offset0:2 offset1:3
	v_mov_b32_e32 v7, s9
	v_add_co_u32_e32 v6, vcc, s8, v31
	v_addc_co_u32_e32 v7, vcc, v32, v7, vcc
	s_waitcnt lgkmcnt(0)
	s_barrier
	s_and_saveexec_b64 s[8:9], s[0:1]
	s_cbranch_execnz .LBB55_50
; %bb.17:                               ;   in Loop: Header=BB55_6 Depth=1
	s_or_b64 exec, exec, s[8:9]
	s_and_saveexec_b64 s[8:9], s[2:3]
	s_cbranch_execnz .LBB55_51
.LBB55_18:                              ;   in Loop: Header=BB55_6 Depth=1
	s_or_b64 exec, exec, s[8:9]
	s_and_saveexec_b64 s[8:9], s[4:5]
	s_cbranch_execnz .LBB55_52
.LBB55_19:                              ;   in Loop: Header=BB55_6 Depth=1
	s_or_b64 exec, exec, s[8:9]
	s_and_saveexec_b64 s[8:9], s[6:7]
	s_cbranch_execz .LBB55_21
.LBB55_20:                              ;   in Loop: Header=BB55_6 Depth=1
	global_load_ushort v8, v[6:7], off offset:384
.LBB55_21:                              ;   in Loop: Header=BB55_6 Depth=1
	s_or_b64 exec, exec, s[8:9]
	s_waitcnt vmcnt(0)
	ds_write_b16 v19, v37
	ds_write_b16 v20, v36
	;; [unrolled: 1-line block ×4, first 2 shown]
	; wave barrier
	ds_read_b64 v[8:9], v23
	v_lshlrev_b32_e32 v36, 16, v10
	v_mul_f32_e32 v36, s21, v36
	v_and_b32_e32 v37, 0x7f800000, v36
	v_cmp_ne_u32_e32 vcc, s26, v37
                                        ; implicit-def: $vgpr45
	s_and_saveexec_b64 s[8:9], vcc
	s_xor_b64 s[8:9], exec, s[8:9]
; %bb.22:                               ;   in Loop: Header=BB55_6 Depth=1
	v_bfe_u32 v37, v36, 16, 1
	v_add3_u32 v45, v36, v37, s27
                                        ; implicit-def: $vgpr36
; %bb.23:                               ;   in Loop: Header=BB55_6 Depth=1
	s_andn2_saveexec_b64 s[8:9], s[8:9]
; %bb.24:                               ;   in Loop: Header=BB55_6 Depth=1
	v_or_b32_e32 v37, 0x10000, v36
	v_cmp_eq_u32_sdwa vcc, v36, v35 src0_sel:WORD_0 src1_sel:DWORD
	v_cndmask_b32_e32 v45, v37, v36, vcc
; %bb.25:                               ;   in Loop: Header=BB55_6 Depth=1
	s_or_b64 exec, exec, s[8:9]
	v_cndmask_b32_e64 v36, 0, 1, s[10:11]
	v_cmp_ne_u32_e64 s[8:9], 1, v36
	s_andn2_b64 vcc, exec, s[10:11]
	s_waitcnt lgkmcnt(0)
	v_lshlrev_b32_e32 v43, 16, v8
	s_cbranch_vccnz .LBB55_31
; %bb.26:                               ;   in Loop: Header=BB55_6 Depth=1
	v_and_b32_e32 v36, 0xffff0000, v45
	v_fmac_f32_e32 v36, s25, v43
	v_and_b32_e32 v37, 0x7f800000, v36
	v_cmp_ne_u32_e32 vcc, s26, v37
                                        ; implicit-def: $vgpr45
	s_and_saveexec_b64 s[16:17], vcc
	s_xor_b64 s[16:17], exec, s[16:17]
; %bb.27:                               ;   in Loop: Header=BB55_6 Depth=1
	v_bfe_u32 v37, v36, 16, 1
	v_add3_u32 v45, v36, v37, s27
                                        ; implicit-def: $vgpr36
; %bb.28:                               ;   in Loop: Header=BB55_6 Depth=1
	s_andn2_saveexec_b64 s[16:17], s[16:17]
; %bb.29:                               ;   in Loop: Header=BB55_6 Depth=1
	v_or_b32_e32 v37, 0x10000, v36
	v_cmp_eq_u32_sdwa vcc, v36, v35 src0_sel:WORD_0 src1_sel:DWORD
	v_cndmask_b32_e32 v45, v37, v36, vcc
; %bb.30:                               ;   in Loop: Header=BB55_6 Depth=1
	s_or_b64 exec, exec, s[16:17]
.LBB55_31:                              ;   in Loop: Header=BB55_6 Depth=1
	v_and_b32_e32 v10, 0xffff0000, v10
	v_mul_f32_e32 v10, s21, v10
	v_and_b32_e32 v36, 0x7f800000, v10
	v_cmp_ne_u32_e32 vcc, s26, v36
                                        ; implicit-def: $vgpr44
	s_and_saveexec_b64 s[16:17], vcc
	s_xor_b64 s[16:17], exec, s[16:17]
; %bb.32:                               ;   in Loop: Header=BB55_6 Depth=1
	v_bfe_u32 v36, v10, 16, 1
	v_add3_u32 v44, v10, v36, s27
                                        ; implicit-def: $vgpr10
; %bb.33:                               ;   in Loop: Header=BB55_6 Depth=1
	s_andn2_saveexec_b64 s[16:17], s[16:17]
; %bb.34:                               ;   in Loop: Header=BB55_6 Depth=1
	v_or_b32_e32 v36, 0x10000, v10
	v_cmp_eq_u32_sdwa vcc, v10, v35 src0_sel:WORD_0 src1_sel:DWORD
	v_cndmask_b32_e32 v44, v36, v10, vcc
; %bb.35:                               ;   in Loop: Header=BB55_6 Depth=1
	s_or_b64 exec, exec, s[16:17]
	v_lshrrev_b32_e32 v36, 16, v8
	s_and_b64 vcc, exec, s[8:9]
	v_lshlrev_b32_e32 v38, 16, v36
	s_cbranch_vccnz .LBB55_41
; %bb.36:                               ;   in Loop: Header=BB55_6 Depth=1
	v_and_b32_e32 v10, 0xffff0000, v44
	v_fmac_f32_e32 v10, s25, v38
	v_and_b32_e32 v37, 0x7f800000, v10
	v_cmp_ne_u32_e32 vcc, s26, v37
                                        ; implicit-def: $vgpr44
	s_and_saveexec_b64 s[16:17], vcc
	s_xor_b64 s[16:17], exec, s[16:17]
; %bb.37:                               ;   in Loop: Header=BB55_6 Depth=1
	v_bfe_u32 v37, v10, 16, 1
	v_add3_u32 v44, v10, v37, s27
                                        ; implicit-def: $vgpr10
; %bb.38:                               ;   in Loop: Header=BB55_6 Depth=1
	s_andn2_saveexec_b64 s[16:17], s[16:17]
; %bb.39:                               ;   in Loop: Header=BB55_6 Depth=1
	v_or_b32_e32 v37, 0x10000, v10
	v_cmp_eq_u32_sdwa vcc, v10, v35 src0_sel:WORD_0 src1_sel:DWORD
	v_cndmask_b32_e32 v44, v37, v10, vcc
; %bb.40:                               ;   in Loop: Header=BB55_6 Depth=1
	s_or_b64 exec, exec, s[16:17]
.LBB55_41:                              ;   in Loop: Header=BB55_6 Depth=1
	v_lshlrev_b32_e32 v10, 16, v11
	v_mul_f32_e32 v10, s21, v10
	v_and_b32_e32 v37, 0x7f800000, v10
	v_cmp_ne_u32_e32 vcc, s26, v37
                                        ; implicit-def: $vgpr42
	s_and_saveexec_b64 s[16:17], vcc
	s_xor_b64 s[16:17], exec, s[16:17]
	s_cbranch_execnz .LBB55_53
; %bb.42:                               ;   in Loop: Header=BB55_6 Depth=1
	s_andn2_saveexec_b64 s[16:17], s[16:17]
	s_cbranch_execnz .LBB55_54
.LBB55_43:                              ;   in Loop: Header=BB55_6 Depth=1
	s_or_b64 exec, exec, s[16:17]
	s_and_b64 vcc, exec, s[8:9]
	v_lshlrev_b32_e32 v39, 16, v9
	s_cbranch_vccz .LBB55_55
	s_branch .LBB55_60
.LBB55_44:                              ;   in Loop: Header=BB55_6 Depth=1
	global_load_ushort v10, v[4:5], off
	s_or_b64 exec, exec, s[2:3]
	v_cmp_gt_u32_e64 s[2:3], s16, v16
	s_and_saveexec_b64 s[4:5], s[2:3]
	s_cbranch_execz .LBB55_8
.LBB55_45:                              ;   in Loop: Header=BB55_6 Depth=1
	global_load_ushort v11, v[4:5], off offset:128
	s_or_b64 exec, exec, s[4:5]
	v_cmp_gt_u32_e64 s[4:5], s16, v17
	s_and_saveexec_b64 s[6:7], s[4:5]
	s_cbranch_execz .LBB55_9
.LBB55_46:                              ;   in Loop: Header=BB55_6 Depth=1
	global_load_ushort v38, v[4:5], off offset:256
	s_or_b64 exec, exec, s[6:7]
	v_cmp_gt_u32_e64 s[6:7], s16, v18
	s_and_saveexec_b64 s[16:17], s[6:7]
	s_cbranch_execnz .LBB55_10
	s_branch .LBB55_11
.LBB55_47:                              ;   in Loop: Header=BB55_6 Depth=1
	global_load_dword v0, v[4:5], off
	s_or_b64 exec, exec, s[16:17]
	s_and_saveexec_b64 s[16:17], s[2:3]
	s_cbranch_execz .LBB55_13
.LBB55_48:                              ;   in Loop: Header=BB55_6 Depth=1
	global_load_dword v1, v[4:5], off offset:256
	s_or_b64 exec, exec, s[16:17]
	s_and_saveexec_b64 s[16:17], s[4:5]
	s_cbranch_execz .LBB55_14
.LBB55_49:                              ;   in Loop: Header=BB55_6 Depth=1
	global_load_dword v2, v[4:5], off offset:512
	s_or_b64 exec, exec, s[16:17]
	s_and_saveexec_b64 s[16:17], s[6:7]
	s_cbranch_execnz .LBB55_15
	s_branch .LBB55_16
.LBB55_50:                              ;   in Loop: Header=BB55_6 Depth=1
	global_load_ushort v37, v[6:7], off
	s_or_b64 exec, exec, s[8:9]
	s_and_saveexec_b64 s[8:9], s[2:3]
	s_cbranch_execz .LBB55_18
.LBB55_51:                              ;   in Loop: Header=BB55_6 Depth=1
	global_load_ushort v36, v[6:7], off offset:128
	s_or_b64 exec, exec, s[8:9]
	s_and_saveexec_b64 s[8:9], s[4:5]
	s_cbranch_execz .LBB55_19
.LBB55_52:                              ;   in Loop: Header=BB55_6 Depth=1
	global_load_ushort v9, v[6:7], off offset:256
	s_or_b64 exec, exec, s[8:9]
	s_and_saveexec_b64 s[8:9], s[6:7]
	s_cbranch_execnz .LBB55_20
	s_branch .LBB55_21
.LBB55_53:                              ;   in Loop: Header=BB55_6 Depth=1
	v_bfe_u32 v37, v10, 16, 1
	v_add3_u32 v42, v10, v37, s27
                                        ; implicit-def: $vgpr10
	s_andn2_saveexec_b64 s[16:17], s[16:17]
	s_cbranch_execz .LBB55_43
.LBB55_54:                              ;   in Loop: Header=BB55_6 Depth=1
	v_or_b32_e32 v37, 0x10000, v10
	v_cmp_eq_u32_sdwa vcc, v10, v35 src0_sel:WORD_0 src1_sel:DWORD
	v_cndmask_b32_e32 v42, v37, v10, vcc
	s_or_b64 exec, exec, s[16:17]
	s_and_b64 vcc, exec, s[8:9]
	v_lshlrev_b32_e32 v39, 16, v9
	s_cbranch_vccnz .LBB55_60
.LBB55_55:                              ;   in Loop: Header=BB55_6 Depth=1
	v_and_b32_e32 v10, 0xffff0000, v42
	v_fmac_f32_e32 v10, s25, v39
	v_and_b32_e32 v37, 0x7f800000, v10
	v_cmp_ne_u32_e32 vcc, s26, v37
                                        ; implicit-def: $vgpr42
	s_and_saveexec_b64 s[16:17], vcc
	s_xor_b64 s[16:17], exec, s[16:17]
; %bb.56:                               ;   in Loop: Header=BB55_6 Depth=1
	v_bfe_u32 v37, v10, 16, 1
	v_add3_u32 v42, v10, v37, s27
                                        ; implicit-def: $vgpr10
; %bb.57:                               ;   in Loop: Header=BB55_6 Depth=1
	s_andn2_saveexec_b64 s[16:17], s[16:17]
; %bb.58:                               ;   in Loop: Header=BB55_6 Depth=1
	v_or_b32_e32 v37, 0x10000, v10
	v_cmp_eq_u32_sdwa vcc, v10, v35 src0_sel:WORD_0 src1_sel:DWORD
	v_cndmask_b32_e32 v42, v37, v10, vcc
; %bb.59:                               ;   in Loop: Header=BB55_6 Depth=1
	s_or_b64 exec, exec, s[16:17]
.LBB55_60:                              ;   in Loop: Header=BB55_6 Depth=1
	v_and_b32_e32 v10, 0xffff0000, v11
	v_mul_f32_e32 v10, s21, v10
	v_and_b32_e32 v11, 0x7f800000, v10
	v_cmp_ne_u32_e32 vcc, s26, v11
                                        ; implicit-def: $vgpr41
	s_and_saveexec_b64 s[16:17], vcc
	s_xor_b64 s[16:17], exec, s[16:17]
; %bb.61:                               ;   in Loop: Header=BB55_6 Depth=1
	v_bfe_u32 v11, v10, 16, 1
	v_add3_u32 v41, v10, v11, s27
                                        ; implicit-def: $vgpr10
; %bb.62:                               ;   in Loop: Header=BB55_6 Depth=1
	s_andn2_saveexec_b64 s[16:17], s[16:17]
; %bb.63:                               ;   in Loop: Header=BB55_6 Depth=1
	v_or_b32_e32 v11, 0x10000, v10
	v_cmp_eq_u32_sdwa vcc, v10, v35 src0_sel:WORD_0 src1_sel:DWORD
	v_cndmask_b32_e32 v41, v11, v10, vcc
; %bb.64:                               ;   in Loop: Header=BB55_6 Depth=1
	s_or_b64 exec, exec, s[16:17]
	v_lshrrev_b32_e32 v40, 16, v9
	s_and_b64 vcc, exec, s[8:9]
	v_lshlrev_b32_e32 v37, 16, v40
	s_cbranch_vccnz .LBB55_70
; %bb.65:                               ;   in Loop: Header=BB55_6 Depth=1
	v_and_b32_e32 v10, 0xffff0000, v41
	v_fmac_f32_e32 v10, s25, v37
	v_and_b32_e32 v11, 0x7f800000, v10
	v_cmp_ne_u32_e32 vcc, s26, v11
                                        ; implicit-def: $vgpr41
	s_and_saveexec_b64 s[8:9], vcc
	s_xor_b64 s[8:9], exec, s[8:9]
; %bb.66:                               ;   in Loop: Header=BB55_6 Depth=1
	v_bfe_u32 v11, v10, 16, 1
	v_add3_u32 v41, v10, v11, s27
                                        ; implicit-def: $vgpr10
; %bb.67:                               ;   in Loop: Header=BB55_6 Depth=1
	s_andn2_saveexec_b64 s[8:9], s[8:9]
; %bb.68:                               ;   in Loop: Header=BB55_6 Depth=1
	v_or_b32_e32 v11, 0x10000, v10
	v_cmp_eq_u32_sdwa vcc, v10, v35 src0_sel:WORD_0 src1_sel:DWORD
	v_cndmask_b32_e32 v41, v11, v10, vcc
; %bb.69:                               ;   in Loop: Header=BB55_6 Depth=1
	s_or_b64 exec, exec, s[8:9]
.LBB55_70:                              ;   in Loop: Header=BB55_6 Depth=1
	v_lshrrev_b32_e32 v10, 16, v45
	v_and_b32_e32 v11, 0x7fff, v10
	v_cmp_ne_u16_e32 vcc, 0, v11
	s_or_b64 s[8:9], s[12:13], vcc
	s_and_saveexec_b64 s[16:17], s[8:9]
	s_cbranch_execz .LBB55_76
; %bb.71:                               ;   in Loop: Header=BB55_6 Depth=1
	v_and_b32_e32 v11, 0xffff0000, v45
	v_mul_f32_e32 v8, v33, v11
	v_mul_f32_e32 v8, v8, v11
	v_fmac_f32_e32 v8, s18, v2
	v_mul_f32_e32 v2, 0x4f800000, v8
	v_cmp_gt_f32_e32 vcc, s28, v8
	v_cndmask_b32_e32 v2, v8, v2, vcc
	v_sqrt_f32_e32 v45, v2
	v_add_u32_e32 v46, -1, v45
	v_fma_f32 v48, -v46, v45, v2
	v_add_u32_e32 v47, 1, v45
	v_cmp_ge_f32_e64 s[8:9], 0, v48
	v_cndmask_b32_e64 v46, v45, v46, s[8:9]
	v_fma_f32 v45, -v47, v45, v2
	v_cmp_lt_f32_e64 s[8:9], 0, v45
	v_cndmask_b32_e64 v45, v46, v47, s[8:9]
	v_mul_f32_e32 v46, 0x37800000, v45
	v_cndmask_b32_e32 v45, v45, v46, vcc
	v_cmp_class_f32_e32 vcc, v2, v34
	v_cndmask_b32_e32 v2, v45, v2, vcc
	v_add_f32_e32 v2, s24, v2
	v_div_scale_f32 v45, s[8:9], v2, v2, v11
	v_rcp_f32_e32 v46, v45
	v_fma_f32 v47, -v45, v46, 1.0
	v_fmac_f32_e32 v46, v47, v46
	v_div_scale_f32 v47, vcc, v11, v2, v11
	v_mul_f32_e32 v48, v47, v46
	v_fma_f32 v49, -v45, v48, v47
	v_fmac_f32_e32 v48, v49, v46
	v_fma_f32 v45, -v45, v48, v47
	v_div_fmas_f32 v45, v45, v46, v48
	v_div_fixup_f32 v2, v45, v2, v11
	v_mul_f32_e32 v2, s20, v2
	v_fma_f32 v2, -v12, v2, v43
	v_and_b32_e32 v11, 0x7f800000, v2
	v_cmp_ne_u32_e32 vcc, s26, v11
                                        ; implicit-def: $vgpr11
	s_and_saveexec_b64 s[8:9], vcc
	s_xor_b64 s[8:9], exec, s[8:9]
; %bb.72:                               ;   in Loop: Header=BB55_6 Depth=1
	v_bfe_u32 v11, v2, 16, 1
	v_add3_u32 v11, v2, v11, s27
                                        ; implicit-def: $vgpr2
; %bb.73:                               ;   in Loop: Header=BB55_6 Depth=1
	s_andn2_saveexec_b64 s[8:9], s[8:9]
; %bb.74:                               ;   in Loop: Header=BB55_6 Depth=1
	v_or_b32_e32 v11, 0x10000, v2
	v_cmp_eq_u32_sdwa vcc, v2, v35 src0_sel:WORD_0 src1_sel:DWORD
	v_cndmask_b32_e32 v11, v11, v2, vcc
; %bb.75:                               ;   in Loop: Header=BB55_6 Depth=1
	s_or_b64 exec, exec, s[8:9]
	v_mov_b32_e32 v2, v8
	v_lshrrev_b32_e32 v8, 16, v11
.LBB55_76:                              ;   in Loop: Header=BB55_6 Depth=1
	s_or_b64 exec, exec, s[16:17]
	v_lshrrev_b32_e32 v11, 16, v44
	v_and_b32_e32 v43, 0x7fff, v11
	v_cmp_ne_u16_e32 vcc, 0, v43
	s_or_b64 s[8:9], s[12:13], vcc
	s_and_saveexec_b64 s[16:17], s[8:9]
	s_cbranch_execz .LBB55_82
; %bb.77:                               ;   in Loop: Header=BB55_6 Depth=1
	v_and_b32_e32 v43, 0xffff0000, v44
	v_mul_f32_e32 v36, v33, v43
	v_mul_f32_e32 v36, v36, v43
	v_fmac_f32_e32 v36, s18, v3
	v_mul_f32_e32 v3, 0x4f800000, v36
	v_cmp_gt_f32_e32 vcc, s28, v36
	v_cndmask_b32_e32 v3, v36, v3, vcc
	v_sqrt_f32_e32 v44, v3
	v_add_u32_e32 v45, -1, v44
	v_fma_f32 v47, -v45, v44, v3
	v_add_u32_e32 v46, 1, v44
	v_cmp_ge_f32_e64 s[8:9], 0, v47
	v_cndmask_b32_e64 v45, v44, v45, s[8:9]
	v_fma_f32 v44, -v46, v44, v3
	v_cmp_lt_f32_e64 s[8:9], 0, v44
	v_cndmask_b32_e64 v44, v45, v46, s[8:9]
	v_mul_f32_e32 v45, 0x37800000, v44
	v_cndmask_b32_e32 v44, v44, v45, vcc
	v_cmp_class_f32_e32 vcc, v3, v34
	v_cndmask_b32_e32 v3, v44, v3, vcc
	v_add_f32_e32 v3, s24, v3
	v_div_scale_f32 v44, s[8:9], v3, v3, v43
	v_rcp_f32_e32 v45, v44
	v_fma_f32 v46, -v44, v45, 1.0
	v_fmac_f32_e32 v45, v46, v45
	v_div_scale_f32 v46, vcc, v43, v3, v43
	v_mul_f32_e32 v47, v46, v45
	v_fma_f32 v48, -v44, v47, v46
	v_fmac_f32_e32 v47, v48, v45
	v_fma_f32 v44, -v44, v47, v46
	v_div_fmas_f32 v44, v44, v45, v47
	v_div_fixup_f32 v3, v44, v3, v43
	v_mul_f32_e32 v3, s20, v3
	v_fma_f32 v3, -v12, v3, v38
	v_and_b32_e32 v38, 0x7f800000, v3
	v_cmp_ne_u32_e32 vcc, s26, v38
                                        ; implicit-def: $vgpr38
	s_and_saveexec_b64 s[8:9], vcc
	s_xor_b64 s[8:9], exec, s[8:9]
; %bb.78:                               ;   in Loop: Header=BB55_6 Depth=1
	v_bfe_u32 v38, v3, 16, 1
	v_add3_u32 v38, v3, v38, s27
                                        ; implicit-def: $vgpr3
; %bb.79:                               ;   in Loop: Header=BB55_6 Depth=1
	s_andn2_saveexec_b64 s[8:9], s[8:9]
; %bb.80:                               ;   in Loop: Header=BB55_6 Depth=1
	v_or_b32_e32 v38, 0x10000, v3
	v_cmp_eq_u32_sdwa vcc, v3, v35 src0_sel:WORD_0 src1_sel:DWORD
	v_cndmask_b32_e32 v38, v38, v3, vcc
; %bb.81:                               ;   in Loop: Header=BB55_6 Depth=1
	s_or_b64 exec, exec, s[8:9]
	v_mov_b32_e32 v3, v36
	v_lshrrev_b32_e32 v36, 16, v38
.LBB55_82:                              ;   in Loop: Header=BB55_6 Depth=1
	s_or_b64 exec, exec, s[16:17]
	v_lshrrev_b32_e32 v38, 16, v42
	v_and_b32_e32 v43, 0x7fff, v38
	v_cmp_ne_u16_e32 vcc, 0, v43
	s_or_b64 s[8:9], s[12:13], vcc
	s_and_saveexec_b64 s[16:17], s[8:9]
	s_cbranch_execz .LBB55_88
; %bb.83:                               ;   in Loop: Header=BB55_6 Depth=1
	v_and_b32_e32 v42, 0xffff0000, v42
	v_mul_f32_e32 v9, v33, v42
	v_mul_f32_e32 v9, v9, v42
	v_fmac_f32_e32 v9, s18, v0
	v_mul_f32_e32 v0, 0x4f800000, v9
	v_cmp_gt_f32_e32 vcc, s28, v9
	v_cndmask_b32_e32 v0, v9, v0, vcc
	v_sqrt_f32_e32 v43, v0
	v_add_u32_e32 v44, -1, v43
	v_fma_f32 v46, -v44, v43, v0
	v_add_u32_e32 v45, 1, v43
	v_cmp_ge_f32_e64 s[8:9], 0, v46
	v_cndmask_b32_e64 v44, v43, v44, s[8:9]
	v_fma_f32 v43, -v45, v43, v0
	v_cmp_lt_f32_e64 s[8:9], 0, v43
	v_cndmask_b32_e64 v43, v44, v45, s[8:9]
	v_mul_f32_e32 v44, 0x37800000, v43
	v_cndmask_b32_e32 v43, v43, v44, vcc
	v_cmp_class_f32_e32 vcc, v0, v34
	v_cndmask_b32_e32 v0, v43, v0, vcc
	v_add_f32_e32 v0, s24, v0
	v_div_scale_f32 v43, s[8:9], v0, v0, v42
	v_rcp_f32_e32 v44, v43
	v_fma_f32 v45, -v43, v44, 1.0
	v_fmac_f32_e32 v44, v45, v44
	v_div_scale_f32 v45, vcc, v42, v0, v42
	v_mul_f32_e32 v46, v45, v44
	v_fma_f32 v47, -v43, v46, v45
	v_fmac_f32_e32 v46, v47, v44
	v_fma_f32 v43, -v43, v46, v45
	v_div_fmas_f32 v43, v43, v44, v46
	v_div_fixup_f32 v0, v43, v0, v42
	v_mul_f32_e32 v0, s20, v0
	v_fma_f32 v0, -v12, v0, v39
	v_and_b32_e32 v39, 0x7f800000, v0
	v_cmp_ne_u32_e32 vcc, s26, v39
                                        ; implicit-def: $vgpr39
	s_and_saveexec_b64 s[8:9], vcc
	s_xor_b64 s[8:9], exec, s[8:9]
; %bb.84:                               ;   in Loop: Header=BB55_6 Depth=1
	v_bfe_u32 v39, v0, 16, 1
	v_add3_u32 v39, v0, v39, s27
                                        ; implicit-def: $vgpr0
; %bb.85:                               ;   in Loop: Header=BB55_6 Depth=1
	s_andn2_saveexec_b64 s[8:9], s[8:9]
; %bb.86:                               ;   in Loop: Header=BB55_6 Depth=1
	v_or_b32_e32 v39, 0x10000, v0
	v_cmp_eq_u32_sdwa vcc, v0, v35 src0_sel:WORD_0 src1_sel:DWORD
	v_cndmask_b32_e32 v39, v39, v0, vcc
; %bb.87:                               ;   in Loop: Header=BB55_6 Depth=1
	s_or_b64 exec, exec, s[8:9]
	v_mov_b32_e32 v0, v9
	v_lshrrev_b32_e32 v9, 16, v39
.LBB55_88:                              ;   in Loop: Header=BB55_6 Depth=1
	s_or_b64 exec, exec, s[16:17]
	v_lshrrev_b32_e32 v39, 16, v41
	v_and_b32_e32 v42, 0x7fff, v39
	v_cmp_ne_u16_e32 vcc, 0, v42
	s_or_b64 s[8:9], s[12:13], vcc
	s_and_saveexec_b64 s[16:17], s[8:9]
	s_cbranch_execz .LBB55_94
; %bb.89:                               ;   in Loop: Header=BB55_6 Depth=1
	v_and_b32_e32 v41, 0xffff0000, v41
	v_mul_f32_e32 v40, v33, v41
	v_mul_f32_e32 v40, v40, v41
	v_fmac_f32_e32 v40, s18, v1
	v_mul_f32_e32 v1, 0x4f800000, v40
	v_cmp_gt_f32_e32 vcc, s28, v40
	v_cndmask_b32_e32 v1, v40, v1, vcc
	v_sqrt_f32_e32 v42, v1
	v_add_u32_e32 v43, -1, v42
	v_fma_f32 v45, -v43, v42, v1
	v_add_u32_e32 v44, 1, v42
	v_cmp_ge_f32_e64 s[8:9], 0, v45
	v_cndmask_b32_e64 v43, v42, v43, s[8:9]
	v_fma_f32 v42, -v44, v42, v1
	v_cmp_lt_f32_e64 s[8:9], 0, v42
	v_cndmask_b32_e64 v42, v43, v44, s[8:9]
	v_mul_f32_e32 v43, 0x37800000, v42
	v_cndmask_b32_e32 v42, v42, v43, vcc
	v_cmp_class_f32_e32 vcc, v1, v34
	v_cndmask_b32_e32 v1, v42, v1, vcc
	v_add_f32_e32 v1, s24, v1
	v_div_scale_f32 v42, s[8:9], v1, v1, v41
	v_rcp_f32_e32 v43, v42
	v_fma_f32 v44, -v42, v43, 1.0
	v_fmac_f32_e32 v43, v44, v43
	v_div_scale_f32 v44, vcc, v41, v1, v41
	v_mul_f32_e32 v45, v44, v43
	v_fma_f32 v46, -v42, v45, v44
	v_fmac_f32_e32 v45, v46, v43
	v_fma_f32 v42, -v42, v45, v44
	v_div_fmas_f32 v42, v42, v43, v45
	v_div_fixup_f32 v1, v42, v1, v41
	v_mul_f32_e32 v1, s20, v1
	v_fma_f32 v1, -v12, v1, v37
	v_and_b32_e32 v37, 0x7f800000, v1
	v_cmp_ne_u32_e32 vcc, s26, v37
                                        ; implicit-def: $vgpr37
	s_and_saveexec_b64 s[8:9], vcc
	s_xor_b64 s[8:9], exec, s[8:9]
; %bb.90:                               ;   in Loop: Header=BB55_6 Depth=1
	v_bfe_u32 v37, v1, 16, 1
	v_add3_u32 v37, v1, v37, s27
                                        ; implicit-def: $vgpr1
; %bb.91:                               ;   in Loop: Header=BB55_6 Depth=1
	s_andn2_saveexec_b64 s[8:9], s[8:9]
; %bb.92:                               ;   in Loop: Header=BB55_6 Depth=1
	v_or_b32_e32 v37, 0x10000, v1
	v_cmp_eq_u32_sdwa vcc, v1, v35 src0_sel:WORD_0 src1_sel:DWORD
	v_cndmask_b32_e32 v37, v37, v1, vcc
; %bb.93:                               ;   in Loop: Header=BB55_6 Depth=1
	s_or_b64 exec, exec, s[8:9]
	v_mov_b32_e32 v1, v40
	v_lshrrev_b32_e32 v40, 16, v37
.LBB55_94:                              ;   in Loop: Header=BB55_6 Depth=1
	s_or_b64 exec, exec, s[16:17]
	v_perm_b32 v9, v40, v9, s29
	v_perm_b32 v8, v36, v8, s29
	s_barrier
	ds_write_b64 v23, v[8:9]
	; wave barrier
	ds_read_u16 v37, v19
	ds_read_u16 v36, v20
	;; [unrolled: 1-line block ×4, first 2 shown]
	s_and_saveexec_b64 s[8:9], s[0:1]
	s_xor_b64 s[8:9], exec, s[8:9]
	s_cbranch_execnz .LBB55_103
; %bb.95:                               ;   in Loop: Header=BB55_6 Depth=1
	s_or_b64 exec, exec, s[8:9]
	s_and_saveexec_b64 s[8:9], s[2:3]
	s_cbranch_execnz .LBB55_104
.LBB55_96:                              ;   in Loop: Header=BB55_6 Depth=1
	s_or_b64 exec, exec, s[8:9]
	s_and_saveexec_b64 s[8:9], s[4:5]
	s_cbranch_execnz .LBB55_105
.LBB55_97:                              ;   in Loop: Header=BB55_6 Depth=1
	s_or_b64 exec, exec, s[8:9]
	s_and_saveexec_b64 s[8:9], s[6:7]
	s_cbranch_execz .LBB55_99
.LBB55_98:                              ;   in Loop: Header=BB55_6 Depth=1
	s_waitcnt lgkmcnt(0)
	global_store_short v[6:7], v8, off offset:384
.LBB55_99:                              ;   in Loop: Header=BB55_6 Depth=1
	s_or_b64 exec, exec, s[8:9]
	s_waitcnt lgkmcnt(0)
	s_barrier
	ds_write2_b32 v30, v2, v3 offset1:1
	ds_write2_b32 v30, v0, v1 offset0:2 offset1:3
	; wave barrier
	ds_read_b32 v0, v26
	ds_read_b32 v1, v27
	;; [unrolled: 1-line block ×4, first 2 shown]
	s_and_saveexec_b64 s[8:9], s[0:1]
	s_cbranch_execnz .LBB55_106
; %bb.100:                              ;   in Loop: Header=BB55_6 Depth=1
	s_or_b64 exec, exec, s[8:9]
	s_and_saveexec_b64 s[0:1], s[2:3]
	s_cbranch_execnz .LBB55_107
.LBB55_101:                             ;   in Loop: Header=BB55_6 Depth=1
	s_or_b64 exec, exec, s[0:1]
	s_and_saveexec_b64 s[0:1], s[4:5]
	s_cbranch_execnz .LBB55_108
.LBB55_102:                             ;   in Loop: Header=BB55_6 Depth=1
	s_or_b64 exec, exec, s[0:1]
	s_and_saveexec_b64 s[0:1], s[6:7]
	s_cbranch_execz .LBB55_5
	s_branch .LBB55_109
.LBB55_103:                             ;   in Loop: Header=BB55_6 Depth=1
	s_waitcnt lgkmcnt(3)
	global_store_short v[6:7], v37, off
	s_or_b64 exec, exec, s[8:9]
	s_and_saveexec_b64 s[8:9], s[2:3]
	s_cbranch_execz .LBB55_96
.LBB55_104:                             ;   in Loop: Header=BB55_6 Depth=1
	s_waitcnt lgkmcnt(2)
	global_store_short v[6:7], v36, off offset:128
	s_or_b64 exec, exec, s[8:9]
	s_and_saveexec_b64 s[8:9], s[4:5]
	s_cbranch_execz .LBB55_97
.LBB55_105:                             ;   in Loop: Header=BB55_6 Depth=1
	s_waitcnt lgkmcnt(1)
	global_store_short v[6:7], v9, off offset:256
	s_or_b64 exec, exec, s[8:9]
	s_and_saveexec_b64 s[8:9], s[6:7]
	s_cbranch_execnz .LBB55_98
	s_branch .LBB55_99
.LBB55_106:                             ;   in Loop: Header=BB55_6 Depth=1
	s_waitcnt lgkmcnt(3)
	global_store_dword v[4:5], v0, off
	s_or_b64 exec, exec, s[8:9]
	s_and_saveexec_b64 s[0:1], s[2:3]
	s_cbranch_execz .LBB55_101
.LBB55_107:                             ;   in Loop: Header=BB55_6 Depth=1
	s_waitcnt lgkmcnt(2)
	global_store_dword v[4:5], v1, off offset:256
	s_or_b64 exec, exec, s[0:1]
	s_and_saveexec_b64 s[0:1], s[4:5]
	s_cbranch_execz .LBB55_102
.LBB55_108:                             ;   in Loop: Header=BB55_6 Depth=1
	s_waitcnt lgkmcnt(1)
	global_store_dword v[4:5], v2, off offset:512
	s_or_b64 exec, exec, s[0:1]
	s_and_saveexec_b64 s[0:1], s[6:7]
	s_cbranch_execz .LBB55_5
.LBB55_109:                             ;   in Loop: Header=BB55_6 Depth=1
	s_waitcnt lgkmcnt(0)
	global_store_dword v[4:5], v3, off offset:768
	s_branch .LBB55_5
.LBB55_110:
	s_endpgm
	.section	.rodata,"a",@progbits
	.p2align	6, 0x0
	.amdhsa_kernel _Z21kOptimizer32bit1StateI12hip_bfloat16Li2EEvPT_S2_PfS3_ffffffiffbi
		.amdhsa_group_segment_fixed_size 16896
		.amdhsa_private_segment_fixed_size 0
		.amdhsa_kernarg_size 336
		.amdhsa_user_sgpr_count 6
		.amdhsa_user_sgpr_private_segment_buffer 1
		.amdhsa_user_sgpr_dispatch_ptr 0
		.amdhsa_user_sgpr_queue_ptr 0
		.amdhsa_user_sgpr_kernarg_segment_ptr 1
		.amdhsa_user_sgpr_dispatch_id 0
		.amdhsa_user_sgpr_flat_scratch_init 0
		.amdhsa_user_sgpr_kernarg_preload_length 0
		.amdhsa_user_sgpr_kernarg_preload_offset 0
		.amdhsa_user_sgpr_private_segment_size 0
		.amdhsa_uses_dynamic_stack 0
		.amdhsa_system_sgpr_private_segment_wavefront_offset 0
		.amdhsa_system_sgpr_workgroup_id_x 1
		.amdhsa_system_sgpr_workgroup_id_y 0
		.amdhsa_system_sgpr_workgroup_id_z 0
		.amdhsa_system_sgpr_workgroup_info 0
		.amdhsa_system_vgpr_workitem_id 0
		.amdhsa_next_free_vgpr 50
		.amdhsa_next_free_sgpr 30
		.amdhsa_accum_offset 52
		.amdhsa_reserve_vcc 1
		.amdhsa_reserve_flat_scratch 0
		.amdhsa_float_round_mode_32 0
		.amdhsa_float_round_mode_16_64 0
		.amdhsa_float_denorm_mode_32 3
		.amdhsa_float_denorm_mode_16_64 3
		.amdhsa_dx10_clamp 1
		.amdhsa_ieee_mode 1
		.amdhsa_fp16_overflow 0
		.amdhsa_tg_split 0
		.amdhsa_exception_fp_ieee_invalid_op 0
		.amdhsa_exception_fp_denorm_src 0
		.amdhsa_exception_fp_ieee_div_zero 0
		.amdhsa_exception_fp_ieee_overflow 0
		.amdhsa_exception_fp_ieee_underflow 0
		.amdhsa_exception_fp_ieee_inexact 0
		.amdhsa_exception_int_div_zero 0
	.end_amdhsa_kernel
	.section	.text._Z21kOptimizer32bit1StateI12hip_bfloat16Li2EEvPT_S2_PfS3_ffffffiffbi,"axG",@progbits,_Z21kOptimizer32bit1StateI12hip_bfloat16Li2EEvPT_S2_PfS3_ffffffiffbi,comdat
.Lfunc_end55:
	.size	_Z21kOptimizer32bit1StateI12hip_bfloat16Li2EEvPT_S2_PfS3_ffffffiffbi, .Lfunc_end55-_Z21kOptimizer32bit1StateI12hip_bfloat16Li2EEvPT_S2_PfS3_ffffffiffbi
                                        ; -- End function
	.section	.AMDGPU.csdata,"",@progbits
; Kernel info:
; codeLenInByte = 3752
; NumSgprs: 34
; NumVgprs: 50
; NumAgprs: 0
; TotalNumVgprs: 50
; ScratchSize: 0
; MemoryBound: 0
; FloatMode: 240
; IeeeMode: 1
; LDSByteSize: 16896 bytes/workgroup (compile time only)
; SGPRBlocks: 4
; VGPRBlocks: 6
; NumSGPRsForWavesPerEU: 34
; NumVGPRsForWavesPerEU: 50
; AccumOffset: 52
; Occupancy: 8
; WaveLimiterHint : 0
; COMPUTE_PGM_RSRC2:SCRATCH_EN: 0
; COMPUTE_PGM_RSRC2:USER_SGPR: 6
; COMPUTE_PGM_RSRC2:TRAP_HANDLER: 0
; COMPUTE_PGM_RSRC2:TGID_X_EN: 1
; COMPUTE_PGM_RSRC2:TGID_Y_EN: 0
; COMPUTE_PGM_RSRC2:TGID_Z_EN: 0
; COMPUTE_PGM_RSRC2:TIDIG_COMP_CNT: 0
; COMPUTE_PGM_RSRC3_GFX90A:ACCUM_OFFSET: 12
; COMPUTE_PGM_RSRC3_GFX90A:TG_SPLIT: 0
	.section	.text._Z21kOptimizer32bit1StateI6__halfLi5EEvPT_S2_PfS3_ffffffiffbi,"axG",@progbits,_Z21kOptimizer32bit1StateI6__halfLi5EEvPT_S2_PfS3_ffffffiffbi,comdat
